;; amdgpu-corpus repo=zjin-lcf/HeCBench kind=compiled arch=gfx1250 opt=O3
	.amdgcn_target "amdgcn-amd-amdhsa--gfx1250"
	.amdhsa_code_object_version 6
	.text
	.protected	_Z24ldpc_cnp_kernel_1st_iterPKfPfS1_PKcPK9h_element ; -- Begin function _Z24ldpc_cnp_kernel_1st_iterPKfPfS1_PKcPK9h_element
	.globl	_Z24ldpc_cnp_kernel_1st_iterPKfPfS1_PKcPK9h_element
	.p2align	8
	.type	_Z24ldpc_cnp_kernel_1st_iterPKfPfS1_PKcPK9h_element,@function
_Z24ldpc_cnp_kernel_1st_iterPKfPfS1_PKcPK9h_element: ; @_Z24ldpc_cnp_kernel_1st_iterPKfPfS1_PKcPK9h_element
; %bb.0:
	s_load_b256 s[4:11], s[0:1], 0x0
	s_bfe_u32 s2, ttmp6, 0x4000c
	s_and_b32 s3, ttmp6, 15
	s_add_co_i32 s2, s2, 1
	s_getreg_b32 s13, hwreg(HW_REG_IB_STS2, 6, 4)
	s_mul_i32 s2, ttmp9, s2
	s_mov_b32 s12, 0
	s_add_co_i32 s3, s3, s2
	s_cmp_eq_u32 s13, 0
	s_cselect_b32 s2, ttmp9, s3
	s_delay_alu instid0(SALU_CYCLE_1)
	v_mov_b32_e32 v1, s2
	s_wait_kmcnt 0x0
	global_load_i8 v1, v1, s[10:11]
	s_wait_loadcnt 0x0
	v_bfe_i32 v2, v1, 0, 16
	v_readfirstlane_b32 s10, v1
	s_delay_alu instid0(VALU_DEP_2)
	v_cmp_gt_i32_e32 vcc_lo, 1, v2
	s_cbranch_vccnz .LBB0_12
; %bb.1:
	s_bfe_u32 s11, ttmp6, 0x40010
	s_load_b64 s[0:1], s[0:1], 0x20
	s_add_co_i32 s11, s11, 1
	s_bfe_u32 s14, ttmp6, 0x40004
	s_mul_i32 s11, ttmp7, s11
	s_ashr_i32 s3, s2, 31
	v_bfe_u32 v1, v0, 10, 10
	s_add_co_i32 s14, s14, s11
	s_cmp_eq_u32 s13, 0
	v_and_b32_e32 v2, 0x3ff, v0
	s_cselect_b32 s11, ttmp7, s14
	s_lshl_b64 s[14:15], s[2:3], 2
	v_lshl_add_u32 v1, s11, 1, v1
	v_dual_mov_b32 v3, 1.0 :: v_dual_mov_b32 v0, 0x447a0000
	v_dual_mov_b32 v7, 0 :: v_dual_mov_b32 v4, 0
	s_delay_alu instid0(VALU_DEP_3)
	v_mul_lo_u32 v6, 0x900, v1
	v_mov_b32_e32 v5, 0
	v_mov_b32_e32 v9, 0x447a0000
	s_sext_i32_i16 s3, s10
	s_wait_kmcnt 0x0
	s_add_nc_u64 s[0:1], s[0:1], s[14:15]
	s_delay_alu instid0(SALU_CYCLE_1) | instskip(NEXT) | instid1(SALU_CYCLE_1)
	s_add_nc_u64 s[0:1], s[0:1], 1
	s_mov_b64 s[10:11], s[0:1]
.LBB0_2:                                ; =>This Inner Loop Header: Depth=1
	global_load_u16 v8, v7, s[10:11]
	s_wait_loadcnt 0x0
	v_bfe_i32 v10, v8, 8, 8
	v_bfe_i32 v8, v8, 0, 8
	s_delay_alu instid0(VALU_DEP_2) | instskip(NEXT) | instid1(VALU_DEP_2)
	v_add_nc_u32_e32 v10, v2, v10
	v_mul_lo_u32 v8, 0x60, v8
	s_delay_alu instid0(VALU_DEP_2) | instskip(SKIP_1) | instid1(VALU_DEP_2)
	v_add_nc_u32_e32 v11, 0xffffffa0, v10
	v_cmp_lt_i32_e32 vcc_lo, 0x5f, v10
	v_cndmask_b32_e32 v10, v10, v11, vcc_lo
	s_delay_alu instid0(VALU_DEP_1)
	v_add3_u32 v8, v8, v6, v10
	global_load_b32 v10, v8, s[4:5] scale_offset
	s_wait_loadcnt 0x0
	v_and_b32_e32 v11, 0x7fffffff, v10
	v_cmp_nlt_f32_e64 s13, |v10|, v9
	s_and_saveexec_b32 s14, s13
	s_delay_alu instid0(SALU_CYCLE_1)
	s_xor_b32 s13, exec_lo, s14
	s_cbranch_execz .LBB0_6
; %bb.3:                                ;   in Loop: Header=BB0_2 Depth=1
	s_mov_b32 s14, exec_lo
	v_cmpx_lt_f32_e64 |v10|, v0
; %bb.4:                                ;   in Loop: Header=BB0_2 Depth=1
	v_mov_b32_e32 v0, v11
; %bb.5:                                ;   in Loop: Header=BB0_2 Depth=1
	s_or_b32 exec_lo, exec_lo, s14
                                        ; implicit-def: $vgpr11
.LBB0_6:                                ;   in Loop: Header=BB0_2 Depth=1
	s_or_saveexec_b32 s13, s13
	v_mov_b32_e32 v8, v9
	s_xor_b32 exec_lo, exec_lo, s13
; %bb.7:                                ;   in Loop: Header=BB0_2 Depth=1
	v_dual_mov_b32 v5, s12 :: v_dual_mov_b32 v8, v11
	v_mov_b32_e32 v0, v9
; %bb.8:                                ;   in Loop: Header=BB0_2 Depth=1
	s_or_b32 exec_lo, exec_lo, s13
	v_cmp_gt_f32_e32 vcc_lo, 0, v10
	s_add_nc_u64 s[10:11], s[10:11], 48
	v_cndmask_b32_e64 v9, 0, 1, vcc_lo
	s_delay_alu instid0(VALU_DEP_1) | instskip(SKIP_1) | instid1(SALU_CYCLE_1)
	v_dual_cndmask_b32 v3, v3, -v3, vcc_lo :: v_dual_lshlrev_b32 v9, s12, v9
	s_add_co_i32 s12, s12, 1
	s_cmp_eq_u32 s3, s12
	s_delay_alu instid0(VALU_DEP_1)
	v_or_b32_e32 v4, v4, v9
	s_cbranch_scc1 .LBB0_10
; %bb.9:                                ;   in Loop: Header=BB0_2 Depth=1
	v_mov_b32_e32 v9, v8
	s_branch .LBB0_2
.LBB0_10:
	v_mad_u32 v2, 0x60, s2, v2
	v_mul_f32_e32 v3, 0x3f400000, v3
	s_mov_b32 s2, 0
	s_delay_alu instid0(VALU_DEP_2)
	v_mad_u32 v1, 0x6c00, v1, v2
	v_bfe_i32 v2, v4, 0, 8
	v_bfe_i32 v4, v5, 0, 8
	v_mov_b32_e32 v5, 0
.LBB0_11:                               ; =>This Inner Loop Header: Depth=1
	global_load_i8 v6, v5, s[0:1]
	v_cmp_eq_u32_e32 vcc_lo, s2, v4
	v_lshrrev_b32_e32 v7, s2, v2
	s_add_co_i32 s2, s2, 1
	s_wait_xcnt 0x0
	s_add_nc_u64 s[0:1], s[0:1], 48
	s_cmp_eq_u32 s3, s2
	v_cndmask_b32_e32 v9, v8, v0, vcc_lo
	v_lshlrev_b16 v7, 1, v7
	s_delay_alu instid0(VALU_DEP_1) | instskip(NEXT) | instid1(VALU_DEP_1)
	v_and_b32_e32 v7, 2, v7
	v_sub_nc_u16 v7, 1, v7
	s_delay_alu instid0(VALU_DEP_1) | instskip(NEXT) | instid1(VALU_DEP_1)
	v_bfe_i32 v7, v7, 0, 16
	v_cvt_f32_i32_e32 v7, v7
	s_delay_alu instid0(VALU_DEP_1) | instskip(NEXT) | instid1(VALU_DEP_1)
	v_mul_f32_e32 v7, v3, v7
	v_mul_f32_e32 v7, v9, v7
	s_wait_loadcnt 0x0
	v_mad_u32 v6, 0x480, v6, v1
	s_clause 0x1
	global_store_b32 v6, v7, s[6:7] scale_offset
	global_store_b32 v6, v7, s[8:9] scale_offset
	s_cbranch_scc0 .LBB0_11
.LBB0_12:
	s_endpgm
	.section	.rodata,"a",@progbits
	.p2align	6, 0x0
	.amdhsa_kernel _Z24ldpc_cnp_kernel_1st_iterPKfPfS1_PKcPK9h_element
		.amdhsa_group_segment_fixed_size 0
		.amdhsa_private_segment_fixed_size 0
		.amdhsa_kernarg_size 40
		.amdhsa_user_sgpr_count 2
		.amdhsa_user_sgpr_dispatch_ptr 0
		.amdhsa_user_sgpr_queue_ptr 0
		.amdhsa_user_sgpr_kernarg_segment_ptr 1
		.amdhsa_user_sgpr_dispatch_id 0
		.amdhsa_user_sgpr_kernarg_preload_length 0
		.amdhsa_user_sgpr_kernarg_preload_offset 0
		.amdhsa_user_sgpr_private_segment_size 0
		.amdhsa_wavefront_size32 1
		.amdhsa_uses_dynamic_stack 0
		.amdhsa_enable_private_segment 0
		.amdhsa_system_sgpr_workgroup_id_x 1
		.amdhsa_system_sgpr_workgroup_id_y 1
		.amdhsa_system_sgpr_workgroup_id_z 0
		.amdhsa_system_sgpr_workgroup_info 0
		.amdhsa_system_vgpr_workitem_id 1
		.amdhsa_next_free_vgpr 12
		.amdhsa_next_free_sgpr 16
		.amdhsa_named_barrier_count 0
		.amdhsa_reserve_vcc 1
		.amdhsa_float_round_mode_32 0
		.amdhsa_float_round_mode_16_64 0
		.amdhsa_float_denorm_mode_32 3
		.amdhsa_float_denorm_mode_16_64 3
		.amdhsa_fp16_overflow 0
		.amdhsa_memory_ordered 1
		.amdhsa_forward_progress 1
		.amdhsa_inst_pref_size 6
		.amdhsa_round_robin_scheduling 0
		.amdhsa_exception_fp_ieee_invalid_op 0
		.amdhsa_exception_fp_denorm_src 0
		.amdhsa_exception_fp_ieee_div_zero 0
		.amdhsa_exception_fp_ieee_overflow 0
		.amdhsa_exception_fp_ieee_underflow 0
		.amdhsa_exception_fp_ieee_inexact 0
		.amdhsa_exception_int_div_zero 0
	.end_amdhsa_kernel
	.text
.Lfunc_end0:
	.size	_Z24ldpc_cnp_kernel_1st_iterPKfPfS1_PKcPK9h_element, .Lfunc_end0-_Z24ldpc_cnp_kernel_1st_iterPKfPfS1_PKcPK9h_element
                                        ; -- End function
	.set _Z24ldpc_cnp_kernel_1st_iterPKfPfS1_PKcPK9h_element.num_vgpr, 12
	.set _Z24ldpc_cnp_kernel_1st_iterPKfPfS1_PKcPK9h_element.num_agpr, 0
	.set _Z24ldpc_cnp_kernel_1st_iterPKfPfS1_PKcPK9h_element.numbered_sgpr, 16
	.set _Z24ldpc_cnp_kernel_1st_iterPKfPfS1_PKcPK9h_element.num_named_barrier, 0
	.set _Z24ldpc_cnp_kernel_1st_iterPKfPfS1_PKcPK9h_element.private_seg_size, 0
	.set _Z24ldpc_cnp_kernel_1st_iterPKfPfS1_PKcPK9h_element.uses_vcc, 1
	.set _Z24ldpc_cnp_kernel_1st_iterPKfPfS1_PKcPK9h_element.uses_flat_scratch, 0
	.set _Z24ldpc_cnp_kernel_1st_iterPKfPfS1_PKcPK9h_element.has_dyn_sized_stack, 0
	.set _Z24ldpc_cnp_kernel_1st_iterPKfPfS1_PKcPK9h_element.has_recursion, 0
	.set _Z24ldpc_cnp_kernel_1st_iterPKfPfS1_PKcPK9h_element.has_indirect_call, 0
	.section	.AMDGPU.csdata,"",@progbits
; Kernel info:
; codeLenInByte = 696
; TotalNumSgprs: 18
; NumVgprs: 12
; ScratchSize: 0
; MemoryBound: 0
; FloatMode: 240
; IeeeMode: 1
; LDSByteSize: 0 bytes/workgroup (compile time only)
; SGPRBlocks: 0
; VGPRBlocks: 0
; NumSGPRsForWavesPerEU: 18
; NumVGPRsForWavesPerEU: 12
; NamedBarCnt: 0
; Occupancy: 16
; WaveLimiterHint : 1
; COMPUTE_PGM_RSRC2:SCRATCH_EN: 0
; COMPUTE_PGM_RSRC2:USER_SGPR: 2
; COMPUTE_PGM_RSRC2:TRAP_HANDLER: 0
; COMPUTE_PGM_RSRC2:TGID_X_EN: 1
; COMPUTE_PGM_RSRC2:TGID_Y_EN: 1
; COMPUTE_PGM_RSRC2:TGID_Z_EN: 0
; COMPUTE_PGM_RSRC2:TIDIG_COMP_CNT: 1
	.text
	.protected	_Z15ldpc_cnp_kernelPKfPfS1_PKcPK9h_element ; -- Begin function _Z15ldpc_cnp_kernelPKfPfS1_PKcPK9h_element
	.globl	_Z15ldpc_cnp_kernelPKfPfS1_PKcPK9h_element
	.p2align	8
	.type	_Z15ldpc_cnp_kernelPKfPfS1_PKcPK9h_element,@function
_Z15ldpc_cnp_kernelPKfPfS1_PKcPK9h_element: ; @_Z15ldpc_cnp_kernelPKfPfS1_PKcPK9h_element
; %bb.0:
	s_clause 0x1
	s_load_b32 s2, s[0:1], 0x34
	s_load_b256 s[4:11], s[0:1], 0x0
	s_bfe_u32 s12, ttmp6, 0x4000c
	s_bfe_u32 s13, ttmp6, 0x40010
	s_add_co_i32 s12, s12, 1
	s_add_co_i32 s13, s13, 1
	s_and_b32 s3, ttmp6, 15
	s_bfe_u32 s14, ttmp6, 0x40004
	s_mul_i32 s12, ttmp9, s12
	s_mul_i32 s13, ttmp7, s13
	s_getreg_b32 s15, hwreg(HW_REG_IB_STS2, 6, 4)
	s_add_co_i32 s3, s3, s12
	s_add_co_i32 s14, s14, s13
	v_and_b32_e32 v3, 0x3ff, v0
	v_bfe_u32 v0, v0, 10, 10
	s_wait_xcnt 0x0
	s_load_b64 s[0:1], s[0:1], 0x20
	s_wait_kmcnt 0x0
	s_and_b32 s13, s2, 0xffff
	s_cmp_eq_u32 s15, 0
	v_mul_u32_u24_e32 v4, s13, v0
	s_cselect_b32 s2, ttmp9, s3
	s_cselect_b32 s14, ttmp7, s14
	s_ashr_i32 s3, s2, 31
	v_mad_u32 v1, 0x60, s2, v3
	s_add_nc_u64 s[10:11], s[10:11], s[2:3]
	v_lshl_add_u32 v2, s14, 1, v0
	s_load_i8 s12, s[10:11], 0x0
	v_lshlrev_b32_e32 v5, 2, v3
	s_mov_b32 s14, 0
	s_delay_alu instid0(VALU_DEP_2) | instskip(SKIP_1) | instid1(VALU_DEP_1)
	v_mad_u32 v0, 0x6c00, v2, v1
	v_lshlrev_b32_e32 v1, 2, v4
	v_add3_u32 v1, 0, v1, v5
	s_wait_kmcnt 0x0
	s_cmp_gt_i32 s12, 0
	s_cselect_b32 s13, -1, 0
	s_cmp_lt_i32 s12, 1
	s_cbranch_scc1 .LBB1_11
; %bb.1:
	v_mul_lo_u32 v5, 0x900, v2
	s_lshl_b64 s[10:11], s[2:3], 2
	v_dual_mov_b32 v6, 1.0 :: v_dual_mov_b32 v7, 0
	v_dual_mov_b32 v2, 0x447a0000 :: v_dual_mov_b32 v9, 0
	v_dual_mov_b32 v8, v1 :: v_dual_mov_b32 v10, 0
	v_mov_b32_e32 v11, 0x447a0000
	s_add_nc_u64 s[10:11], s[0:1], s[10:11]
	s_delay_alu instid0(SALU_CYCLE_1)
	s_add_nc_u64 s[10:11], s[10:11], 1
.LBB1_2:                                ; =>This Inner Loop Header: Depth=1
	global_load_u16 v4, v7, s[10:11]
	s_wait_loadcnt 0x0
	v_bfe_i32 v12, v4, 8, 8
	v_bfe_i32 v4, v4, 0, 8
	s_delay_alu instid0(VALU_DEP_2) | instskip(NEXT) | instid1(VALU_DEP_2)
	v_add_nc_u32_e32 v12, v3, v12
	v_mul_lo_u32 v13, 0x60, v4
	v_mad_u32 v4, 0x480, v4, v0
	s_delay_alu instid0(VALU_DEP_3) | instskip(SKIP_1) | instid1(VALU_DEP_2)
	v_add_nc_u32_e32 v14, 0xffffffa0, v12
	v_cmp_lt_i32_e32 vcc_lo, 0x5f, v12
	v_cndmask_b32_e32 v12, v12, v14, vcc_lo
	s_delay_alu instid0(VALU_DEP_1)
	v_add3_u32 v12, v13, v5, v12
	global_load_b32 v14, v4, s[8:9] scale_offset
	global_load_b32 v13, v12, s[4:5] scale_offset
	s_wait_loadcnt 0x1
	ds_store_b32 v8, v14
	s_wait_loadcnt 0x0
	s_wait_xcnt 0x0
	v_sub_f32_e32 v12, v13, v14
	s_delay_alu instid0(VALU_DEP_1) | instskip(SKIP_2) | instid1(SALU_CYCLE_1)
	v_and_b32_e32 v13, 0x7fffffff, v12
	v_cmp_nlt_f32_e64 s15, |v12|, v11
	s_and_saveexec_b32 s16, s15
	s_xor_b32 s15, exec_lo, s16
	s_cbranch_execz .LBB1_6
; %bb.3:                                ;   in Loop: Header=BB1_2 Depth=1
	s_mov_b32 s16, exec_lo
	v_cmpx_lt_f32_e64 |v12|, v2
; %bb.4:                                ;   in Loop: Header=BB1_2 Depth=1
	v_mov_b32_e32 v2, v13
; %bb.5:                                ;   in Loop: Header=BB1_2 Depth=1
	s_or_b32 exec_lo, exec_lo, s16
                                        ; implicit-def: $vgpr13
.LBB1_6:                                ;   in Loop: Header=BB1_2 Depth=1
	s_or_saveexec_b32 s15, s15
	v_mov_b32_e32 v4, v11
	s_xor_b32 exec_lo, exec_lo, s15
; %bb.7:                                ;   in Loop: Header=BB1_2 Depth=1
	v_dual_mov_b32 v10, s14 :: v_dual_mov_b32 v4, v13
	v_mov_b32_e32 v2, v11
; %bb.8:                                ;   in Loop: Header=BB1_2 Depth=1
	s_or_b32 exec_lo, exec_lo, s15
	v_cmp_gt_f32_e32 vcc_lo, 0, v12
	v_add_nc_u32_e32 v8, 0x300, v8
	s_add_nc_u64 s[10:11], s[10:11], 48
	v_cndmask_b32_e64 v11, 0, 1, vcc_lo
	s_delay_alu instid0(VALU_DEP_1) | instskip(SKIP_1) | instid1(SALU_CYCLE_1)
	v_dual_cndmask_b32 v6, v6, -v6, vcc_lo :: v_dual_lshlrev_b32 v11, s14, v11
	s_add_co_i32 s14, s14, 1
	s_cmp_eq_u32 s12, s14
	s_delay_alu instid0(VALU_DEP_1)
	v_or_b32_e32 v9, v9, v11
	s_cbranch_scc1 .LBB1_10
; %bb.9:                                ;   in Loop: Header=BB1_2 Depth=1
	v_mov_b32_e32 v11, v4
	s_branch .LBB1_2
.LBB1_10:
	s_delay_alu instid0(VALU_DEP_1)
	v_bfe_i32 v5, v9, 0, 8
	v_mul_f32_e32 v3, 0x3f400000, v6
	v_bfe_i32 v6, v10, 0, 8
	s_branch .LBB1_12
.LBB1_11:
	v_dual_mov_b32 v3, 0x3f400000 :: v_dual_mov_b32 v6, 0
	v_dual_mov_b32 v2, 0x447a0000 :: v_dual_mov_b32 v5, 0
	v_mov_b32_e32 v4, 0x447a0000
.LBB1_12:
	s_and_not1_b32 vcc_lo, exec_lo, s13
	s_wait_dscnt 0x0
	s_barrier_signal -1
	s_barrier_wait -1
	s_cbranch_vccnz .LBB1_15
; %bb.13:
	s_lshl_b64 s[2:3], s[2:3], 2
	v_mov_b32_e32 v7, 0
	s_add_nc_u64 s[0:1], s[0:1], s[2:3]
	s_mov_b32 s2, 0
	s_add_nc_u64 s[0:1], s[0:1], 1
.LBB1_14:                               ; =>This Inner Loop Header: Depth=1
	global_load_i8 v8, v7, s[0:1]
	v_cmp_eq_u32_e32 vcc_lo, s2, v6
	v_lshrrev_b32_e32 v9, s2, v5
	ds_load_b32 v10, v1
	v_add_nc_u32_e32 v1, 0x300, v1
	s_add_co_i32 s2, s2, 1
	v_cndmask_b32_e32 v11, v4, v2, vcc_lo
	v_lshlrev_b16 v9, 1, v9
	s_wait_xcnt 0x0
	s_add_nc_u64 s[0:1], s[0:1], 48
	s_cmp_eq_u32 s12, s2
	s_delay_alu instid0(VALU_DEP_1) | instskip(NEXT) | instid1(VALU_DEP_1)
	v_and_b32_e32 v9, 2, v9
	v_sub_nc_u16 v9, 1, v9
	s_delay_alu instid0(VALU_DEP_1) | instskip(NEXT) | instid1(VALU_DEP_1)
	v_bfe_i32 v9, v9, 0, 16
	v_cvt_f32_i32_e32 v9, v9
	s_delay_alu instid0(VALU_DEP_1) | instskip(SKIP_1) | instid1(VALU_DEP_1)
	v_mul_f32_e32 v9, v3, v9
	s_wait_dscnt 0x0
	v_dual_fma_f32 v10, v11, v9, -v10 :: v_dual_mul_f32 v9, v11, v9
	s_wait_loadcnt 0x0
	v_mad_u32 v8, 0x480, v8, v0
	s_clause 0x1
	global_store_b32 v8, v10, s[6:7] scale_offset
	global_store_b32 v8, v9, s[8:9] scale_offset
	s_cbranch_scc0 .LBB1_14
.LBB1_15:
	s_endpgm
	.section	.rodata,"a",@progbits
	.p2align	6, 0x0
	.amdhsa_kernel _Z15ldpc_cnp_kernelPKfPfS1_PKcPK9h_element
		.amdhsa_group_segment_fixed_size 0
		.amdhsa_private_segment_fixed_size 0
		.amdhsa_kernarg_size 296
		.amdhsa_user_sgpr_count 2
		.amdhsa_user_sgpr_dispatch_ptr 0
		.amdhsa_user_sgpr_queue_ptr 0
		.amdhsa_user_sgpr_kernarg_segment_ptr 1
		.amdhsa_user_sgpr_dispatch_id 0
		.amdhsa_user_sgpr_kernarg_preload_length 0
		.amdhsa_user_sgpr_kernarg_preload_offset 0
		.amdhsa_user_sgpr_private_segment_size 0
		.amdhsa_wavefront_size32 1
		.amdhsa_uses_dynamic_stack 0
		.amdhsa_enable_private_segment 0
		.amdhsa_system_sgpr_workgroup_id_x 1
		.amdhsa_system_sgpr_workgroup_id_y 1
		.amdhsa_system_sgpr_workgroup_id_z 0
		.amdhsa_system_sgpr_workgroup_info 0
		.amdhsa_system_vgpr_workitem_id 1
		.amdhsa_next_free_vgpr 15
		.amdhsa_next_free_sgpr 17
		.amdhsa_named_barrier_count 0
		.amdhsa_reserve_vcc 1
		.amdhsa_float_round_mode_32 0
		.amdhsa_float_round_mode_16_64 0
		.amdhsa_float_denorm_mode_32 3
		.amdhsa_float_denorm_mode_16_64 3
		.amdhsa_fp16_overflow 0
		.amdhsa_memory_ordered 1
		.amdhsa_forward_progress 1
		.amdhsa_inst_pref_size 7
		.amdhsa_round_robin_scheduling 0
		.amdhsa_exception_fp_ieee_invalid_op 0
		.amdhsa_exception_fp_denorm_src 0
		.amdhsa_exception_fp_ieee_div_zero 0
		.amdhsa_exception_fp_ieee_overflow 0
		.amdhsa_exception_fp_ieee_underflow 0
		.amdhsa_exception_fp_ieee_inexact 0
		.amdhsa_exception_int_div_zero 0
	.end_amdhsa_kernel
	.text
.Lfunc_end1:
	.size	_Z15ldpc_cnp_kernelPKfPfS1_PKcPK9h_element, .Lfunc_end1-_Z15ldpc_cnp_kernelPKfPfS1_PKcPK9h_element
                                        ; -- End function
	.set _Z15ldpc_cnp_kernelPKfPfS1_PKcPK9h_element.num_vgpr, 15
	.set _Z15ldpc_cnp_kernelPKfPfS1_PKcPK9h_element.num_agpr, 0
	.set _Z15ldpc_cnp_kernelPKfPfS1_PKcPK9h_element.numbered_sgpr, 17
	.set _Z15ldpc_cnp_kernelPKfPfS1_PKcPK9h_element.num_named_barrier, 0
	.set _Z15ldpc_cnp_kernelPKfPfS1_PKcPK9h_element.private_seg_size, 0
	.set _Z15ldpc_cnp_kernelPKfPfS1_PKcPK9h_element.uses_vcc, 1
	.set _Z15ldpc_cnp_kernelPKfPfS1_PKcPK9h_element.uses_flat_scratch, 0
	.set _Z15ldpc_cnp_kernelPKfPfS1_PKcPK9h_element.has_dyn_sized_stack, 0
	.set _Z15ldpc_cnp_kernelPKfPfS1_PKcPK9h_element.has_recursion, 0
	.set _Z15ldpc_cnp_kernelPKfPfS1_PKcPK9h_element.has_indirect_call, 0
	.section	.AMDGPU.csdata,"",@progbits
; Kernel info:
; codeLenInByte = 868
; TotalNumSgprs: 19
; NumVgprs: 15
; ScratchSize: 0
; MemoryBound: 0
; FloatMode: 240
; IeeeMode: 1
; LDSByteSize: 0 bytes/workgroup (compile time only)
; SGPRBlocks: 0
; VGPRBlocks: 0
; NumSGPRsForWavesPerEU: 19
; NumVGPRsForWavesPerEU: 15
; NamedBarCnt: 0
; Occupancy: 16
; WaveLimiterHint : 1
; COMPUTE_PGM_RSRC2:SCRATCH_EN: 0
; COMPUTE_PGM_RSRC2:USER_SGPR: 2
; COMPUTE_PGM_RSRC2:TRAP_HANDLER: 0
; COMPUTE_PGM_RSRC2:TGID_X_EN: 1
; COMPUTE_PGM_RSRC2:TGID_Y_EN: 1
; COMPUTE_PGM_RSRC2:TGID_Z_EN: 0
; COMPUTE_PGM_RSRC2:TIDIG_COMP_CNT: 1
	.text
	.protected	_Z22ldpc_vnp_kernel_normalPfS_PKcPK9h_element ; -- Begin function _Z22ldpc_vnp_kernel_normalPfS_PKcPK9h_element
	.globl	_Z22ldpc_vnp_kernel_normalPfS_PKcPK9h_element
	.p2align	8
	.type	_Z22ldpc_vnp_kernel_normalPfS_PKcPK9h_element,@function
_Z22ldpc_vnp_kernel_normalPfS_PKcPK9h_element: ; @_Z22ldpc_vnp_kernel_normalPfS_PKcPK9h_element
; %bb.0:
	s_load_b256 s[4:11], s[0:1], 0x0
	s_wait_xcnt 0x0
	s_bfe_u32 s1, ttmp6, 0x4000c
	s_bfe_u32 s2, ttmp6, 0x40010
	s_add_co_i32 s1, s1, 1
	s_add_co_i32 s2, s2, 1
	s_and_b32 s0, ttmp6, 15
	s_mul_i32 s1, ttmp9, s1
	s_mul_i32 s2, ttmp7, s2
	s_bfe_u32 s3, ttmp6, 0x40004
	s_add_co_i32 s0, s0, s1
	s_getreg_b32 s1, hwreg(HW_REG_IB_STS2, 6, 4)
	s_add_co_i32 s3, s3, s2
	v_and_b32_e32 v2, 0x3ff, v0
	s_cmp_eq_u32 s1, 0
	v_bfe_u32 v0, v0, 10, 10
	s_cselect_b32 s0, ttmp9, s0
	s_cselect_b32 s1, ttmp7, s3
	v_mad_u32 v1, 0x60, s0, v2
	s_delay_alu instid0(VALU_DEP_2) | instskip(NEXT) | instid1(VALU_DEP_1)
	v_lshl_add_u32 v4, s1, 1, v0
	v_mad_u32 v0, 0x900, v4, v1
	v_mov_b32_e32 v3, s0
	s_wait_kmcnt 0x0
	global_load_i8 v5, v3, s[8:9]
	global_load_b32 v3, v0, s[4:5] scale_offset
	s_wait_loadcnt 0x1
	v_bfe_i32 v1, v5, 0, 16
	v_readfirstlane_b32 s2, v5
	s_delay_alu instid0(VALU_DEP_2)
	v_cmp_gt_i32_e32 vcc_lo, 1, v1
	v_ashrrev_i32_e32 v1, 31, v0
	s_cbranch_vccnz .LBB2_3
; %bb.1:
	s_mul_i32 s1, s0, 0x480
	s_sext_i32_i16 s2, s2
	v_mad_u32 v4, 0x6c00, v4, s1
	s_ashr_i32 s1, s0, 31
	s_delay_alu instid0(SALU_CYCLE_1) | instskip(NEXT) | instid1(SALU_CYCLE_1)
	s_lshl_b64 s[0:1], s[0:1], 2
	s_add_nc_u64 s[0:1], s[10:11], s[0:1]
	s_delay_alu instid0(SALU_CYCLE_1)
	s_add_nc_u64 s[0:1], s[0:1], 2
.LBB2_2:                                ; =>This Inner Loop Header: Depth=1
	s_delay_alu instid0(SALU_CYCLE_1)
	s_add_nc_u64 s[8:9], s[0:1], -2
	s_clause 0x1
	s_load_i8 s3, s[0:1], 0x0
	s_load_i8 s10, s[8:9], 0x0
	s_add_co_i32 s2, s2, -1
	s_wait_xcnt 0x0
	s_add_nc_u64 s[0:1], s[0:1], 0x60
	s_cmp_eq_u32 s2, 0
	s_wait_kmcnt 0x0
	v_subrev_nc_u32_e32 v5, s3, v2
	s_mulk_i32 s10, 0x60
	s_delay_alu instid0(VALU_DEP_1) | instskip(SKIP_1) | instid1(VALU_DEP_2)
	v_add_nc_u32_e32 v6, 0x60, v5
	v_cmp_gt_i32_e32 vcc_lo, 0, v5
	v_cndmask_b32_e32 v5, v5, v6, vcc_lo
	s_delay_alu instid0(VALU_DEP_1)
	v_add3_u32 v5, v4, s10, v5
	global_load_b32 v5, v5, s[6:7] scale_offset
	s_wait_loadcnt 0x0
	v_add_f32_e32 v3, v3, v5
	s_cbranch_scc0 .LBB2_2
.LBB2_3:
	s_wait_xcnt 0x0
	s_delay_alu instid0(VALU_DEP_1)
	v_lshl_add_u64 v[0:1], v[0:1], 2, s[4:5]
	s_wait_loadcnt 0x0
	global_store_b32 v[0:1], v3, off
	s_endpgm
	.section	.rodata,"a",@progbits
	.p2align	6, 0x0
	.amdhsa_kernel _Z22ldpc_vnp_kernel_normalPfS_PKcPK9h_element
		.amdhsa_group_segment_fixed_size 0
		.amdhsa_private_segment_fixed_size 0
		.amdhsa_kernarg_size 32
		.amdhsa_user_sgpr_count 2
		.amdhsa_user_sgpr_dispatch_ptr 0
		.amdhsa_user_sgpr_queue_ptr 0
		.amdhsa_user_sgpr_kernarg_segment_ptr 1
		.amdhsa_user_sgpr_dispatch_id 0
		.amdhsa_user_sgpr_kernarg_preload_length 0
		.amdhsa_user_sgpr_kernarg_preload_offset 0
		.amdhsa_user_sgpr_private_segment_size 0
		.amdhsa_wavefront_size32 1
		.amdhsa_uses_dynamic_stack 0
		.amdhsa_enable_private_segment 0
		.amdhsa_system_sgpr_workgroup_id_x 1
		.amdhsa_system_sgpr_workgroup_id_y 1
		.amdhsa_system_sgpr_workgroup_id_z 0
		.amdhsa_system_sgpr_workgroup_info 0
		.amdhsa_system_vgpr_workitem_id 1
		.amdhsa_next_free_vgpr 7
		.amdhsa_next_free_sgpr 12
		.amdhsa_named_barrier_count 0
		.amdhsa_reserve_vcc 1
		.amdhsa_float_round_mode_32 0
		.amdhsa_float_round_mode_16_64 0
		.amdhsa_float_denorm_mode_32 3
		.amdhsa_float_denorm_mode_16_64 3
		.amdhsa_fp16_overflow 0
		.amdhsa_memory_ordered 1
		.amdhsa_forward_progress 1
		.amdhsa_inst_pref_size 4
		.amdhsa_round_robin_scheduling 0
		.amdhsa_exception_fp_ieee_invalid_op 0
		.amdhsa_exception_fp_denorm_src 0
		.amdhsa_exception_fp_ieee_div_zero 0
		.amdhsa_exception_fp_ieee_overflow 0
		.amdhsa_exception_fp_ieee_underflow 0
		.amdhsa_exception_fp_ieee_inexact 0
		.amdhsa_exception_int_div_zero 0
	.end_amdhsa_kernel
	.text
.Lfunc_end2:
	.size	_Z22ldpc_vnp_kernel_normalPfS_PKcPK9h_element, .Lfunc_end2-_Z22ldpc_vnp_kernel_normalPfS_PKcPK9h_element
                                        ; -- End function
	.set _Z22ldpc_vnp_kernel_normalPfS_PKcPK9h_element.num_vgpr, 7
	.set _Z22ldpc_vnp_kernel_normalPfS_PKcPK9h_element.num_agpr, 0
	.set _Z22ldpc_vnp_kernel_normalPfS_PKcPK9h_element.numbered_sgpr, 12
	.set _Z22ldpc_vnp_kernel_normalPfS_PKcPK9h_element.num_named_barrier, 0
	.set _Z22ldpc_vnp_kernel_normalPfS_PKcPK9h_element.private_seg_size, 0
	.set _Z22ldpc_vnp_kernel_normalPfS_PKcPK9h_element.uses_vcc, 1
	.set _Z22ldpc_vnp_kernel_normalPfS_PKcPK9h_element.uses_flat_scratch, 0
	.set _Z22ldpc_vnp_kernel_normalPfS_PKcPK9h_element.has_dyn_sized_stack, 0
	.set _Z22ldpc_vnp_kernel_normalPfS_PKcPK9h_element.has_recursion, 0
	.set _Z22ldpc_vnp_kernel_normalPfS_PKcPK9h_element.has_indirect_call, 0
	.section	.AMDGPU.csdata,"",@progbits
; Kernel info:
; codeLenInByte = 396
; TotalNumSgprs: 14
; NumVgprs: 7
; ScratchSize: 0
; MemoryBound: 0
; FloatMode: 240
; IeeeMode: 1
; LDSByteSize: 0 bytes/workgroup (compile time only)
; SGPRBlocks: 0
; VGPRBlocks: 0
; NumSGPRsForWavesPerEU: 14
; NumVGPRsForWavesPerEU: 7
; NamedBarCnt: 0
; Occupancy: 16
; WaveLimiterHint : 1
; COMPUTE_PGM_RSRC2:SCRATCH_EN: 0
; COMPUTE_PGM_RSRC2:USER_SGPR: 2
; COMPUTE_PGM_RSRC2:TRAP_HANDLER: 0
; COMPUTE_PGM_RSRC2:TGID_X_EN: 1
; COMPUTE_PGM_RSRC2:TGID_Y_EN: 1
; COMPUTE_PGM_RSRC2:TGID_Z_EN: 0
; COMPUTE_PGM_RSRC2:TIDIG_COMP_CNT: 1
	.text
	.protected	_Z25ldpc_vnp_kernel_last_iterPKfS0_PiPKcPK9h_element ; -- Begin function _Z25ldpc_vnp_kernel_last_iterPKfS0_PiPKcPK9h_element
	.globl	_Z25ldpc_vnp_kernel_last_iterPKfS0_PiPKcPK9h_element
	.p2align	8
	.type	_Z25ldpc_vnp_kernel_last_iterPKfS0_PiPKcPK9h_element,@function
_Z25ldpc_vnp_kernel_last_iterPKfS0_PiPKcPK9h_element: ; @_Z25ldpc_vnp_kernel_last_iterPKfS0_PiPKcPK9h_element
; %bb.0:
	s_bfe_u32 s3, ttmp6, 0x4000c
	s_bfe_u32 s12, ttmp6, 0x40010
	s_add_co_i32 s3, s3, 1
	s_add_co_i32 s12, s12, 1
	s_and_b32 s2, ttmp6, 15
	s_mul_i32 s3, ttmp9, s3
	s_mul_i32 s12, ttmp7, s12
	s_bfe_u32 s13, ttmp6, 0x40004
	s_add_co_i32 s2, s2, s3
	s_getreg_b32 s3, hwreg(HW_REG_IB_STS2, 6, 4)
	s_add_co_i32 s13, s13, s12
	v_and_b32_e32 v3, 0x3ff, v0
	s_load_b256 s[4:11], s[0:1], 0x0
	s_cmp_eq_u32 s3, 0
	v_bfe_u32 v0, v0, 10, 10
	s_cselect_b32 s2, ttmp9, s2
	s_cselect_b32 s3, ttmp7, s13
	v_mad_u32 v1, 0x60, s2, v3
	s_wait_xcnt 0x0
	s_load_b64 s[0:1], s[0:1], 0x20
	v_lshl_add_u32 v4, s3, 1, v0
	s_delay_alu instid0(VALU_DEP_1)
	v_mad_u32 v0, 0x900, v4, v1
	v_mov_b32_e32 v2, s2
	s_wait_kmcnt 0x0
	global_load_i8 v5, v2, s[10:11]
	global_load_b32 v2, v0, s[4:5] scale_offset
	s_wait_loadcnt 0x1
	v_bfe_i32 v1, v5, 0, 16
	s_wait_xcnt 0x0
	v_readfirstlane_b32 s4, v5
	s_delay_alu instid0(VALU_DEP_2)
	v_cmp_gt_i32_e32 vcc_lo, 1, v1
	v_ashrrev_i32_e32 v1, 31, v0
	s_cbranch_vccnz .LBB3_3
; %bb.1:
	s_mul_i32 s3, s2, 0x480
	s_delay_alu instid0(SALU_CYCLE_1) | instskip(SKIP_1) | instid1(SALU_CYCLE_1)
	v_mad_u32 v4, 0x6c00, v4, s3
	s_ashr_i32 s3, s2, 31
	s_lshl_b64 s[2:3], s[2:3], 2
	s_delay_alu instid0(SALU_CYCLE_1)
	s_add_nc_u64 s[0:1], s[0:1], s[2:3]
	s_sext_i32_i16 s2, s4
	s_add_nc_u64 s[0:1], s[0:1], 2
.LBB3_2:                                ; =>This Inner Loop Header: Depth=1
	s_delay_alu instid0(SALU_CYCLE_1)
	s_add_nc_u64 s[4:5], s[0:1], -2
	s_clause 0x1
	s_load_i8 s3, s[0:1], 0x0
	s_load_i8 s10, s[4:5], 0x0
	s_add_co_i32 s2, s2, -1
	s_wait_xcnt 0x0
	s_add_nc_u64 s[0:1], s[0:1], 0x60
	s_cmp_eq_u32 s2, 0
	s_wait_kmcnt 0x0
	v_subrev_nc_u32_e32 v5, s3, v3
	s_mulk_i32 s10, 0x60
	s_delay_alu instid0(VALU_DEP_1) | instskip(SKIP_1) | instid1(VALU_DEP_2)
	v_add_nc_u32_e32 v6, 0x60, v5
	v_cmp_gt_i32_e32 vcc_lo, 0, v5
	v_cndmask_b32_e32 v5, v5, v6, vcc_lo
	s_delay_alu instid0(VALU_DEP_1)
	v_add3_u32 v5, v4, s10, v5
	global_load_b32 v5, v5, s[6:7] scale_offset
	s_wait_loadcnt 0x0
	v_add_f32_e32 v2, v2, v5
	s_cbranch_scc0 .LBB3_2
.LBB3_3:
	s_wait_loadcnt 0x0
	s_delay_alu instid0(VALU_DEP_1) | instskip(NEXT) | instid1(VALU_DEP_2)
	v_cmp_nlt_f32_e32 vcc_lo, 0, v2
	v_lshl_add_u64 v[0:1], v[0:1], 2, s[8:9]
	v_cndmask_b32_e64 v2, 0, 1, vcc_lo
	global_store_b32 v[0:1], v2, off
	s_endpgm
	.section	.rodata,"a",@progbits
	.p2align	6, 0x0
	.amdhsa_kernel _Z25ldpc_vnp_kernel_last_iterPKfS0_PiPKcPK9h_element
		.amdhsa_group_segment_fixed_size 0
		.amdhsa_private_segment_fixed_size 0
		.amdhsa_kernarg_size 40
		.amdhsa_user_sgpr_count 2
		.amdhsa_user_sgpr_dispatch_ptr 0
		.amdhsa_user_sgpr_queue_ptr 0
		.amdhsa_user_sgpr_kernarg_segment_ptr 1
		.amdhsa_user_sgpr_dispatch_id 0
		.amdhsa_user_sgpr_kernarg_preload_length 0
		.amdhsa_user_sgpr_kernarg_preload_offset 0
		.amdhsa_user_sgpr_private_segment_size 0
		.amdhsa_wavefront_size32 1
		.amdhsa_uses_dynamic_stack 0
		.amdhsa_enable_private_segment 0
		.amdhsa_system_sgpr_workgroup_id_x 1
		.amdhsa_system_sgpr_workgroup_id_y 1
		.amdhsa_system_sgpr_workgroup_id_z 0
		.amdhsa_system_sgpr_workgroup_info 0
		.amdhsa_system_vgpr_workitem_id 1
		.amdhsa_next_free_vgpr 7
		.amdhsa_next_free_sgpr 14
		.amdhsa_named_barrier_count 0
		.amdhsa_reserve_vcc 1
		.amdhsa_float_round_mode_32 0
		.amdhsa_float_round_mode_16_64 0
		.amdhsa_float_denorm_mode_32 3
		.amdhsa_float_denorm_mode_16_64 3
		.amdhsa_fp16_overflow 0
		.amdhsa_memory_ordered 1
		.amdhsa_forward_progress 1
		.amdhsa_inst_pref_size 4
		.amdhsa_round_robin_scheduling 0
		.amdhsa_exception_fp_ieee_invalid_op 0
		.amdhsa_exception_fp_denorm_src 0
		.amdhsa_exception_fp_ieee_div_zero 0
		.amdhsa_exception_fp_ieee_overflow 0
		.amdhsa_exception_fp_ieee_underflow 0
		.amdhsa_exception_fp_ieee_inexact 0
		.amdhsa_exception_int_div_zero 0
	.end_amdhsa_kernel
	.text
.Lfunc_end3:
	.size	_Z25ldpc_vnp_kernel_last_iterPKfS0_PiPKcPK9h_element, .Lfunc_end3-_Z25ldpc_vnp_kernel_last_iterPKfS0_PiPKcPK9h_element
                                        ; -- End function
	.set _Z25ldpc_vnp_kernel_last_iterPKfS0_PiPKcPK9h_element.num_vgpr, 7
	.set _Z25ldpc_vnp_kernel_last_iterPKfS0_PiPKcPK9h_element.num_agpr, 0
	.set _Z25ldpc_vnp_kernel_last_iterPKfS0_PiPKcPK9h_element.numbered_sgpr, 14
	.set _Z25ldpc_vnp_kernel_last_iterPKfS0_PiPKcPK9h_element.num_named_barrier, 0
	.set _Z25ldpc_vnp_kernel_last_iterPKfS0_PiPKcPK9h_element.private_seg_size, 0
	.set _Z25ldpc_vnp_kernel_last_iterPKfS0_PiPKcPK9h_element.uses_vcc, 1
	.set _Z25ldpc_vnp_kernel_last_iterPKfS0_PiPKcPK9h_element.uses_flat_scratch, 0
	.set _Z25ldpc_vnp_kernel_last_iterPKfS0_PiPKcPK9h_element.has_dyn_sized_stack, 0
	.set _Z25ldpc_vnp_kernel_last_iterPKfS0_PiPKcPK9h_element.has_recursion, 0
	.set _Z25ldpc_vnp_kernel_last_iterPKfS0_PiPKcPK9h_element.has_indirect_call, 0
	.section	.AMDGPU.csdata,"",@progbits
; Kernel info:
; codeLenInByte = 416
; TotalNumSgprs: 16
; NumVgprs: 7
; ScratchSize: 0
; MemoryBound: 0
; FloatMode: 240
; IeeeMode: 1
; LDSByteSize: 0 bytes/workgroup (compile time only)
; SGPRBlocks: 0
; VGPRBlocks: 0
; NumSGPRsForWavesPerEU: 16
; NumVGPRsForWavesPerEU: 7
; NamedBarCnt: 0
; Occupancy: 16
; WaveLimiterHint : 1
; COMPUTE_PGM_RSRC2:SCRATCH_EN: 0
; COMPUTE_PGM_RSRC2:USER_SGPR: 2
; COMPUTE_PGM_RSRC2:TRAP_HANDLER: 0
; COMPUTE_PGM_RSRC2:TGID_X_EN: 1
; COMPUTE_PGM_RSRC2:TGID_Y_EN: 1
; COMPUTE_PGM_RSRC2:TGID_Z_EN: 0
; COMPUTE_PGM_RSRC2:TIDIG_COMP_CNT: 1
	.text
	.p2alignl 7, 3214868480
	.fill 96, 4, 3214868480
	.section	.AMDGPU.gpr_maximums,"",@progbits
	.set amdgpu.max_num_vgpr, 0
	.set amdgpu.max_num_agpr, 0
	.set amdgpu.max_num_sgpr, 0
	.text
	.type	__hip_cuid_12cbc6f7e68b3d61,@object ; @__hip_cuid_12cbc6f7e68b3d61
	.section	.bss,"aw",@nobits
	.globl	__hip_cuid_12cbc6f7e68b3d61
__hip_cuid_12cbc6f7e68b3d61:
	.byte	0                               ; 0x0
	.size	__hip_cuid_12cbc6f7e68b3d61, 1

	.ident	"AMD clang version 22.0.0git (https://github.com/RadeonOpenCompute/llvm-project roc-7.2.4 26084 f58b06dce1f9c15707c5f808fd002e18c2accf7e)"
	.section	".note.GNU-stack","",@progbits
	.addrsig
	.addrsig_sym __hip_cuid_12cbc6f7e68b3d61
	.amdgpu_metadata
---
amdhsa.kernels:
  - .args:
      - .address_space:  global
        .offset:         0
        .size:           8
        .value_kind:     global_buffer
      - .address_space:  global
        .offset:         8
        .size:           8
        .value_kind:     global_buffer
      - .address_space:  global
        .offset:         16
        .size:           8
        .value_kind:     global_buffer
      - .address_space:  global
        .offset:         24
        .size:           8
        .value_kind:     global_buffer
      - .address_space:  global
        .offset:         32
        .size:           8
        .value_kind:     global_buffer
    .group_segment_fixed_size: 0
    .kernarg_segment_align: 8
    .kernarg_segment_size: 40
    .language:       OpenCL C
    .language_version:
      - 2
      - 0
    .max_flat_workgroup_size: 1024
    .name:           _Z24ldpc_cnp_kernel_1st_iterPKfPfS1_PKcPK9h_element
    .private_segment_fixed_size: 0
    .sgpr_count:     18
    .sgpr_spill_count: 0
    .symbol:         _Z24ldpc_cnp_kernel_1st_iterPKfPfS1_PKcPK9h_element.kd
    .uniform_work_group_size: 1
    .uses_dynamic_stack: false
    .vgpr_count:     12
    .vgpr_spill_count: 0
    .wavefront_size: 32
  - .args:
      - .address_space:  global
        .offset:         0
        .size:           8
        .value_kind:     global_buffer
      - .address_space:  global
        .offset:         8
        .size:           8
        .value_kind:     global_buffer
      - .address_space:  global
        .offset:         16
        .size:           8
        .value_kind:     global_buffer
      - .address_space:  global
        .offset:         24
        .size:           8
        .value_kind:     global_buffer
      - .address_space:  global
        .offset:         32
        .size:           8
        .value_kind:     global_buffer
      - .offset:         40
        .size:           4
        .value_kind:     hidden_block_count_x
      - .offset:         44
        .size:           4
        .value_kind:     hidden_block_count_y
      - .offset:         48
        .size:           4
        .value_kind:     hidden_block_count_z
      - .offset:         52
        .size:           2
        .value_kind:     hidden_group_size_x
      - .offset:         54
        .size:           2
        .value_kind:     hidden_group_size_y
      - .offset:         56
        .size:           2
        .value_kind:     hidden_group_size_z
      - .offset:         58
        .size:           2
        .value_kind:     hidden_remainder_x
      - .offset:         60
        .size:           2
        .value_kind:     hidden_remainder_y
      - .offset:         62
        .size:           2
        .value_kind:     hidden_remainder_z
      - .offset:         80
        .size:           8
        .value_kind:     hidden_global_offset_x
      - .offset:         88
        .size:           8
        .value_kind:     hidden_global_offset_y
      - .offset:         96
        .size:           8
        .value_kind:     hidden_global_offset_z
      - .offset:         104
        .size:           2
        .value_kind:     hidden_grid_dims
      - .offset:         160
        .size:           4
        .value_kind:     hidden_dynamic_lds_size
    .group_segment_fixed_size: 0
    .kernarg_segment_align: 8
    .kernarg_segment_size: 296
    .language:       OpenCL C
    .language_version:
      - 2
      - 0
    .max_flat_workgroup_size: 1024
    .name:           _Z15ldpc_cnp_kernelPKfPfS1_PKcPK9h_element
    .private_segment_fixed_size: 0
    .sgpr_count:     19
    .sgpr_spill_count: 0
    .symbol:         _Z15ldpc_cnp_kernelPKfPfS1_PKcPK9h_element.kd
    .uniform_work_group_size: 1
    .uses_dynamic_stack: false
    .vgpr_count:     15
    .vgpr_spill_count: 0
    .wavefront_size: 32
  - .args:
      - .address_space:  global
        .offset:         0
        .size:           8
        .value_kind:     global_buffer
      - .address_space:  global
        .offset:         8
        .size:           8
        .value_kind:     global_buffer
      - .address_space:  global
        .offset:         16
        .size:           8
        .value_kind:     global_buffer
      - .address_space:  global
        .offset:         24
        .size:           8
        .value_kind:     global_buffer
    .group_segment_fixed_size: 0
    .kernarg_segment_align: 8
    .kernarg_segment_size: 32
    .language:       OpenCL C
    .language_version:
      - 2
      - 0
    .max_flat_workgroup_size: 1024
    .name:           _Z22ldpc_vnp_kernel_normalPfS_PKcPK9h_element
    .private_segment_fixed_size: 0
    .sgpr_count:     14
    .sgpr_spill_count: 0
    .symbol:         _Z22ldpc_vnp_kernel_normalPfS_PKcPK9h_element.kd
    .uniform_work_group_size: 1
    .uses_dynamic_stack: false
    .vgpr_count:     7
    .vgpr_spill_count: 0
    .wavefront_size: 32
  - .args:
      - .address_space:  global
        .offset:         0
        .size:           8
        .value_kind:     global_buffer
      - .address_space:  global
        .offset:         8
        .size:           8
        .value_kind:     global_buffer
      - .address_space:  global
        .offset:         16
        .size:           8
        .value_kind:     global_buffer
      - .address_space:  global
        .offset:         24
        .size:           8
        .value_kind:     global_buffer
      - .address_space:  global
        .offset:         32
        .size:           8
        .value_kind:     global_buffer
    .group_segment_fixed_size: 0
    .kernarg_segment_align: 8
    .kernarg_segment_size: 40
    .language:       OpenCL C
    .language_version:
      - 2
      - 0
    .max_flat_workgroup_size: 1024
    .name:           _Z25ldpc_vnp_kernel_last_iterPKfS0_PiPKcPK9h_element
    .private_segment_fixed_size: 0
    .sgpr_count:     16
    .sgpr_spill_count: 0
    .symbol:         _Z25ldpc_vnp_kernel_last_iterPKfS0_PiPKcPK9h_element.kd
    .uniform_work_group_size: 1
    .uses_dynamic_stack: false
    .vgpr_count:     7
    .vgpr_spill_count: 0
    .wavefront_size: 32
amdhsa.target:   amdgcn-amd-amdhsa--gfx1250
amdhsa.version:
  - 1
  - 2
...

	.end_amdgpu_metadata
